;; amdgpu-corpus repo=ROCm/rocFFT kind=compiled arch=gfx1100 opt=O3
	.text
	.amdgcn_target "amdgcn-amd-amdhsa--gfx1100"
	.amdhsa_code_object_version 6
	.protected	fft_rtc_fwd_len242_factors_11_2_11_wgs_110_tpt_22_dp_op_CI_CI_unitstride_sbrr_R2C_dirReg ; -- Begin function fft_rtc_fwd_len242_factors_11_2_11_wgs_110_tpt_22_dp_op_CI_CI_unitstride_sbrr_R2C_dirReg
	.globl	fft_rtc_fwd_len242_factors_11_2_11_wgs_110_tpt_22_dp_op_CI_CI_unitstride_sbrr_R2C_dirReg
	.p2align	8
	.type	fft_rtc_fwd_len242_factors_11_2_11_wgs_110_tpt_22_dp_op_CI_CI_unitstride_sbrr_R2C_dirReg,@function
fft_rtc_fwd_len242_factors_11_2_11_wgs_110_tpt_22_dp_op_CI_CI_unitstride_sbrr_R2C_dirReg: ; @fft_rtc_fwd_len242_factors_11_2_11_wgs_110_tpt_22_dp_op_CI_CI_unitstride_sbrr_R2C_dirReg
; %bb.0:
	s_load_b128 s[8:11], s[0:1], 0x0
	v_mul_u32_u24_e32 v1, 0xba3, v0
	s_clause 0x1
	s_load_b128 s[4:7], s[0:1], 0x58
	s_load_b128 s[16:19], s[0:1], 0x18
	v_mov_b32_e32 v5, 0
	v_lshrrev_b32_e32 v6, 16, v1
	v_mov_b32_e32 v1, 0
	v_mov_b32_e32 v2, 0
	s_delay_alu instid0(VALU_DEP_3) | instskip(NEXT) | instid1(VALU_DEP_2)
	v_mad_u64_u32 v[3:4], null, s15, 5, v[6:7]
	v_dual_mov_b32 v4, v5 :: v_dual_mov_b32 v49, v2
	s_delay_alu instid0(VALU_DEP_1) | instskip(NEXT) | instid1(VALU_DEP_3)
	v_dual_mov_b32 v48, v1 :: v_dual_mov_b32 v53, v4
	v_mov_b32_e32 v52, v3
	s_waitcnt lgkmcnt(0)
	v_cmp_lt_u64_e64 s2, s[10:11], 2
	s_delay_alu instid0(VALU_DEP_1)
	s_and_b32 vcc_lo, exec_lo, s2
	s_cbranch_vccnz .LBB0_8
; %bb.1:
	s_load_b64 s[2:3], s[0:1], 0x10
	v_dual_mov_b32 v1, 0 :: v_dual_mov_b32 v8, v4
	v_dual_mov_b32 v2, 0 :: v_dual_mov_b32 v7, v3
	s_add_u32 s12, s18, 8
	s_addc_u32 s13, s19, 0
	s_add_u32 s14, s16, 8
	s_delay_alu instid0(VALU_DEP_1)
	v_dual_mov_b32 v49, v2 :: v_dual_mov_b32 v48, v1
	s_addc_u32 s15, s17, 0
	s_mov_b64 s[22:23], 1
	s_waitcnt lgkmcnt(0)
	s_add_u32 s20, s2, 8
	s_addc_u32 s21, s3, 0
.LBB0_2:                                ; =>This Inner Loop Header: Depth=1
	s_load_b64 s[24:25], s[20:21], 0x0
                                        ; implicit-def: $vgpr52_vgpr53
	s_mov_b32 s2, exec_lo
	s_waitcnt lgkmcnt(0)
	v_or_b32_e32 v6, s25, v8
	s_delay_alu instid0(VALU_DEP_1)
	v_cmpx_ne_u64_e32 0, v[5:6]
	s_xor_b32 s3, exec_lo, s2
	s_cbranch_execz .LBB0_4
; %bb.3:                                ;   in Loop: Header=BB0_2 Depth=1
	v_cvt_f32_u32_e32 v4, s24
	v_cvt_f32_u32_e32 v6, s25
	s_sub_u32 s2, 0, s24
	s_subb_u32 s26, 0, s25
	s_delay_alu instid0(VALU_DEP_1) | instskip(NEXT) | instid1(VALU_DEP_1)
	v_fmac_f32_e32 v4, 0x4f800000, v6
	v_rcp_f32_e32 v4, v4
	s_waitcnt_depctr 0xfff
	v_mul_f32_e32 v4, 0x5f7ffffc, v4
	s_delay_alu instid0(VALU_DEP_1) | instskip(NEXT) | instid1(VALU_DEP_1)
	v_mul_f32_e32 v6, 0x2f800000, v4
	v_trunc_f32_e32 v6, v6
	s_delay_alu instid0(VALU_DEP_1) | instskip(SKIP_1) | instid1(VALU_DEP_2)
	v_fmac_f32_e32 v4, 0xcf800000, v6
	v_cvt_u32_f32_e32 v6, v6
	v_cvt_u32_f32_e32 v4, v4
	s_delay_alu instid0(VALU_DEP_2) | instskip(NEXT) | instid1(VALU_DEP_2)
	v_mul_lo_u32 v9, s2, v6
	v_mul_hi_u32 v10, s2, v4
	v_mul_lo_u32 v11, s26, v4
	s_delay_alu instid0(VALU_DEP_2) | instskip(SKIP_1) | instid1(VALU_DEP_2)
	v_add_nc_u32_e32 v9, v10, v9
	v_mul_lo_u32 v10, s2, v4
	v_add_nc_u32_e32 v9, v9, v11
	s_delay_alu instid0(VALU_DEP_2) | instskip(NEXT) | instid1(VALU_DEP_2)
	v_mul_hi_u32 v11, v4, v10
	v_mul_lo_u32 v12, v4, v9
	v_mul_hi_u32 v13, v4, v9
	v_mul_hi_u32 v14, v6, v10
	v_mul_lo_u32 v10, v6, v10
	v_mul_hi_u32 v15, v6, v9
	v_mul_lo_u32 v9, v6, v9
	v_add_co_u32 v11, vcc_lo, v11, v12
	v_add_co_ci_u32_e32 v12, vcc_lo, 0, v13, vcc_lo
	s_delay_alu instid0(VALU_DEP_2) | instskip(NEXT) | instid1(VALU_DEP_2)
	v_add_co_u32 v10, vcc_lo, v11, v10
	v_add_co_ci_u32_e32 v10, vcc_lo, v12, v14, vcc_lo
	v_add_co_ci_u32_e32 v11, vcc_lo, 0, v15, vcc_lo
	s_delay_alu instid0(VALU_DEP_2) | instskip(NEXT) | instid1(VALU_DEP_2)
	v_add_co_u32 v9, vcc_lo, v10, v9
	v_add_co_ci_u32_e32 v10, vcc_lo, 0, v11, vcc_lo
	s_delay_alu instid0(VALU_DEP_2) | instskip(NEXT) | instid1(VALU_DEP_2)
	v_add_co_u32 v4, vcc_lo, v4, v9
	v_add_co_ci_u32_e32 v6, vcc_lo, v6, v10, vcc_lo
	s_delay_alu instid0(VALU_DEP_2) | instskip(SKIP_1) | instid1(VALU_DEP_3)
	v_mul_hi_u32 v9, s2, v4
	v_mul_lo_u32 v11, s26, v4
	v_mul_lo_u32 v10, s2, v6
	s_delay_alu instid0(VALU_DEP_1) | instskip(SKIP_1) | instid1(VALU_DEP_2)
	v_add_nc_u32_e32 v9, v9, v10
	v_mul_lo_u32 v10, s2, v4
	v_add_nc_u32_e32 v9, v9, v11
	s_delay_alu instid0(VALU_DEP_2) | instskip(NEXT) | instid1(VALU_DEP_2)
	v_mul_hi_u32 v11, v4, v10
	v_mul_lo_u32 v12, v4, v9
	v_mul_hi_u32 v13, v4, v9
	v_mul_hi_u32 v14, v6, v10
	v_mul_lo_u32 v10, v6, v10
	v_mul_hi_u32 v15, v6, v9
	v_mul_lo_u32 v9, v6, v9
	v_add_co_u32 v11, vcc_lo, v11, v12
	v_add_co_ci_u32_e32 v12, vcc_lo, 0, v13, vcc_lo
	s_delay_alu instid0(VALU_DEP_2) | instskip(NEXT) | instid1(VALU_DEP_2)
	v_add_co_u32 v10, vcc_lo, v11, v10
	v_add_co_ci_u32_e32 v10, vcc_lo, v12, v14, vcc_lo
	v_add_co_ci_u32_e32 v11, vcc_lo, 0, v15, vcc_lo
	s_delay_alu instid0(VALU_DEP_2) | instskip(NEXT) | instid1(VALU_DEP_2)
	v_add_co_u32 v9, vcc_lo, v10, v9
	v_add_co_ci_u32_e32 v10, vcc_lo, 0, v11, vcc_lo
	s_delay_alu instid0(VALU_DEP_2) | instskip(NEXT) | instid1(VALU_DEP_2)
	v_add_co_u32 v4, vcc_lo, v4, v9
	v_add_co_ci_u32_e32 v6, vcc_lo, v6, v10, vcc_lo
	s_delay_alu instid0(VALU_DEP_2) | instskip(SKIP_1) | instid1(VALU_DEP_3)
	v_mul_hi_u32 v15, v7, v4
	v_mad_u64_u32 v[11:12], null, v8, v4, 0
	v_mad_u64_u32 v[9:10], null, v7, v6, 0
	;; [unrolled: 1-line block ×3, first 2 shown]
	s_delay_alu instid0(VALU_DEP_2) | instskip(NEXT) | instid1(VALU_DEP_3)
	v_add_co_u32 v4, vcc_lo, v15, v9
	v_add_co_ci_u32_e32 v6, vcc_lo, 0, v10, vcc_lo
	s_delay_alu instid0(VALU_DEP_2) | instskip(NEXT) | instid1(VALU_DEP_2)
	v_add_co_u32 v4, vcc_lo, v4, v11
	v_add_co_ci_u32_e32 v4, vcc_lo, v6, v12, vcc_lo
	v_add_co_ci_u32_e32 v6, vcc_lo, 0, v14, vcc_lo
	s_delay_alu instid0(VALU_DEP_2) | instskip(NEXT) | instid1(VALU_DEP_2)
	v_add_co_u32 v4, vcc_lo, v4, v13
	v_add_co_ci_u32_e32 v6, vcc_lo, 0, v6, vcc_lo
	s_delay_alu instid0(VALU_DEP_2) | instskip(SKIP_1) | instid1(VALU_DEP_3)
	v_mul_lo_u32 v11, s25, v4
	v_mad_u64_u32 v[9:10], null, s24, v4, 0
	v_mul_lo_u32 v12, s24, v6
	s_delay_alu instid0(VALU_DEP_2) | instskip(NEXT) | instid1(VALU_DEP_2)
	v_sub_co_u32 v9, vcc_lo, v7, v9
	v_add3_u32 v10, v10, v12, v11
	s_delay_alu instid0(VALU_DEP_1) | instskip(NEXT) | instid1(VALU_DEP_1)
	v_sub_nc_u32_e32 v11, v8, v10
	v_subrev_co_ci_u32_e64 v11, s2, s25, v11, vcc_lo
	v_add_co_u32 v12, s2, v4, 2
	s_delay_alu instid0(VALU_DEP_1) | instskip(SKIP_3) | instid1(VALU_DEP_3)
	v_add_co_ci_u32_e64 v13, s2, 0, v6, s2
	v_sub_co_u32 v14, s2, v9, s24
	v_sub_co_ci_u32_e32 v10, vcc_lo, v8, v10, vcc_lo
	v_subrev_co_ci_u32_e64 v11, s2, 0, v11, s2
	v_cmp_le_u32_e32 vcc_lo, s24, v14
	s_delay_alu instid0(VALU_DEP_3) | instskip(SKIP_1) | instid1(VALU_DEP_4)
	v_cmp_eq_u32_e64 s2, s25, v10
	v_cndmask_b32_e64 v14, 0, -1, vcc_lo
	v_cmp_le_u32_e32 vcc_lo, s25, v11
	v_cndmask_b32_e64 v15, 0, -1, vcc_lo
	v_cmp_le_u32_e32 vcc_lo, s24, v9
	;; [unrolled: 2-line block ×3, first 2 shown]
	v_cndmask_b32_e64 v16, 0, -1, vcc_lo
	v_cmp_eq_u32_e32 vcc_lo, s25, v11
	s_delay_alu instid0(VALU_DEP_2) | instskip(SKIP_3) | instid1(VALU_DEP_3)
	v_cndmask_b32_e64 v9, v16, v9, s2
	v_cndmask_b32_e32 v11, v15, v14, vcc_lo
	v_add_co_u32 v14, vcc_lo, v4, 1
	v_add_co_ci_u32_e32 v15, vcc_lo, 0, v6, vcc_lo
	v_cmp_ne_u32_e32 vcc_lo, 0, v11
	s_delay_alu instid0(VALU_DEP_2) | instskip(SKIP_1) | instid1(VALU_DEP_2)
	v_dual_cndmask_b32 v10, v15, v13 :: v_dual_cndmask_b32 v11, v14, v12
	v_cmp_ne_u32_e32 vcc_lo, 0, v9
	v_dual_cndmask_b32 v53, v6, v10 :: v_dual_cndmask_b32 v52, v4, v11
.LBB0_4:                                ;   in Loop: Header=BB0_2 Depth=1
	s_and_not1_saveexec_b32 s2, s3
	s_cbranch_execz .LBB0_6
; %bb.5:                                ;   in Loop: Header=BB0_2 Depth=1
	v_cvt_f32_u32_e32 v4, s24
	s_sub_i32 s3, 0, s24
	v_mov_b32_e32 v53, v5
	s_delay_alu instid0(VALU_DEP_2) | instskip(SKIP_2) | instid1(VALU_DEP_1)
	v_rcp_iflag_f32_e32 v4, v4
	s_waitcnt_depctr 0xfff
	v_mul_f32_e32 v4, 0x4f7ffffe, v4
	v_cvt_u32_f32_e32 v4, v4
	s_delay_alu instid0(VALU_DEP_1) | instskip(NEXT) | instid1(VALU_DEP_1)
	v_mul_lo_u32 v6, s3, v4
	v_mul_hi_u32 v6, v4, v6
	s_delay_alu instid0(VALU_DEP_1) | instskip(NEXT) | instid1(VALU_DEP_1)
	v_add_nc_u32_e32 v4, v4, v6
	v_mul_hi_u32 v4, v7, v4
	s_delay_alu instid0(VALU_DEP_1) | instskip(NEXT) | instid1(VALU_DEP_1)
	v_mul_lo_u32 v6, v4, s24
	v_sub_nc_u32_e32 v6, v7, v6
	s_delay_alu instid0(VALU_DEP_1) | instskip(SKIP_1) | instid1(VALU_DEP_2)
	v_subrev_nc_u32_e32 v10, s24, v6
	v_cmp_le_u32_e32 vcc_lo, s24, v6
	v_dual_cndmask_b32 v6, v6, v10 :: v_dual_add_nc_u32 v9, 1, v4
	s_delay_alu instid0(VALU_DEP_1) | instskip(NEXT) | instid1(VALU_DEP_2)
	v_cndmask_b32_e32 v4, v4, v9, vcc_lo
	v_cmp_le_u32_e32 vcc_lo, s24, v6
	s_delay_alu instid0(VALU_DEP_2) | instskip(NEXT) | instid1(VALU_DEP_1)
	v_add_nc_u32_e32 v9, 1, v4
	v_cndmask_b32_e32 v52, v4, v9, vcc_lo
.LBB0_6:                                ;   in Loop: Header=BB0_2 Depth=1
	s_or_b32 exec_lo, exec_lo, s2
	s_delay_alu instid0(VALU_DEP_1) | instskip(NEXT) | instid1(VALU_DEP_2)
	v_mul_lo_u32 v4, v53, s24
	v_mul_lo_u32 v6, v52, s25
	s_load_b64 s[2:3], s[14:15], 0x0
	v_mad_u64_u32 v[9:10], null, v52, s24, 0
	s_load_b64 s[24:25], s[12:13], 0x0
	s_add_u32 s22, s22, 1
	s_addc_u32 s23, s23, 0
	s_add_u32 s12, s12, 8
	s_addc_u32 s13, s13, 0
	s_add_u32 s14, s14, 8
	s_delay_alu instid0(VALU_DEP_1) | instskip(SKIP_3) | instid1(VALU_DEP_2)
	v_add3_u32 v4, v10, v6, v4
	v_sub_co_u32 v10, vcc_lo, v7, v9
	s_addc_u32 s15, s15, 0
	s_add_u32 s20, s20, 8
	v_sub_co_ci_u32_e32 v4, vcc_lo, v8, v4, vcc_lo
	s_addc_u32 s21, s21, 0
	s_waitcnt lgkmcnt(0)
	s_delay_alu instid0(VALU_DEP_1)
	v_mul_lo_u32 v11, s2, v4
	v_mul_lo_u32 v12, s3, v10
	v_mad_u64_u32 v[6:7], null, s2, v10, v[1:2]
	v_mul_lo_u32 v4, s24, v4
	v_mul_lo_u32 v13, s25, v10
	v_mad_u64_u32 v[8:9], null, s24, v10, v[48:49]
	v_cmp_ge_u64_e64 s2, s[22:23], s[10:11]
	v_add3_u32 v2, v12, v7, v11
	s_delay_alu instid0(VALU_DEP_3) | instskip(NEXT) | instid1(VALU_DEP_4)
	v_dual_mov_b32 v1, v6 :: v_dual_mov_b32 v48, v8
	v_add3_u32 v49, v13, v9, v4
	s_delay_alu instid0(VALU_DEP_4)
	s_and_b32 vcc_lo, exec_lo, s2
	s_cbranch_vccnz .LBB0_8
; %bb.7:                                ;   in Loop: Header=BB0_2 Depth=1
	v_dual_mov_b32 v7, v52 :: v_dual_mov_b32 v8, v53
	s_branch .LBB0_2
.LBB0_8:
	s_load_b64 s[0:1], s[0:1], 0x28
	v_mul_hi_u32 v4, 0xcccccccd, v3
	s_lshl_b64 s[10:11], s[10:11], 3
                                        ; implicit-def: $vgpr50
                                        ; implicit-def: $vgpr55
                                        ; implicit-def: $vgpr59
                                        ; implicit-def: $vgpr58
                                        ; implicit-def: $vgpr57
                                        ; implicit-def: $vgpr54
	s_delay_alu instid0(SALU_CYCLE_1) | instskip(SKIP_1) | instid1(VALU_DEP_1)
	s_add_u32 s2, s18, s10
	s_addc_u32 s3, s19, s11
	v_lshrrev_b32_e32 v4, 2, v4
	s_delay_alu instid0(VALU_DEP_1) | instskip(SKIP_1) | instid1(VALU_DEP_2)
	v_lshl_add_u32 v5, v4, 2, v4
	v_mul_hi_u32 v4, 0xba2e8bb, v0
	v_sub_nc_u32_e32 v3, v3, v5
	s_waitcnt lgkmcnt(0)
	v_cmp_gt_u64_e32 vcc_lo, s[0:1], v[52:53]
	v_cmp_le_u64_e64 s0, s[0:1], v[52:53]
	s_delay_alu instid0(VALU_DEP_1) | instskip(NEXT) | instid1(SALU_CYCLE_1)
	s_and_saveexec_b32 s1, s0
	s_xor_b32 s0, exec_lo, s1
; %bb.9:
	s_delay_alu instid0(VALU_DEP_4) | instskip(NEXT) | instid1(VALU_DEP_1)
	v_mul_u32_u24_e32 v1, 22, v4
                                        ; implicit-def: $vgpr4
	v_sub_nc_u32_e32 v50, v0, v1
                                        ; implicit-def: $vgpr0
                                        ; implicit-def: $vgpr1_vgpr2
	s_delay_alu instid0(VALU_DEP_1)
	v_add_nc_u32_e32 v55, 22, v50
	v_add_nc_u32_e32 v59, 44, v50
	;; [unrolled: 1-line block ×5, first 2 shown]
; %bb.10:
	s_or_saveexec_b32 s1, s0
	v_mul_u32_u24_e32 v3, 0xf3, v3
	s_delay_alu instid0(VALU_DEP_1)
	v_lshlrev_b32_e32 v60, 4, v3
	s_xor_b32 exec_lo, exec_lo, s1
	s_cbranch_execz .LBB0_12
; %bb.11:
	s_add_u32 s10, s16, s10
	s_addc_u32 s11, s17, s11
	v_lshlrev_b64 v[1:2], 4, v[1:2]
	s_load_b64 s[10:11], s[10:11], 0x0
	s_waitcnt lgkmcnt(0)
	v_mul_lo_u32 v3, s11, v52
	v_mul_lo_u32 v7, s10, v53
	v_mad_u64_u32 v[5:6], null, s10, v52, 0
	s_delay_alu instid0(VALU_DEP_1) | instskip(SKIP_1) | instid1(VALU_DEP_2)
	v_add3_u32 v6, v6, v7, v3
	v_mul_u32_u24_e32 v7, 22, v4
	v_lshlrev_b64 v[3:4], 4, v[5:6]
	s_delay_alu instid0(VALU_DEP_2) | instskip(NEXT) | instid1(VALU_DEP_1)
	v_sub_nc_u32_e32 v50, v0, v7
	v_lshlrev_b32_e32 v44, 4, v50
	s_delay_alu instid0(VALU_DEP_3) | instskip(NEXT) | instid1(VALU_DEP_1)
	v_add_co_u32 v0, s0, s4, v3
	v_add_co_ci_u32_e64 v3, s0, s5, v4, s0
	v_add_nc_u32_e32 v55, 22, v50
	s_delay_alu instid0(VALU_DEP_3) | instskip(NEXT) | instid1(VALU_DEP_1)
	v_add_co_u32 v0, s0, v0, v1
	v_add_co_ci_u32_e64 v1, s0, v3, v2, s0
	v_add_nc_u32_e32 v59, 44, v50
	s_delay_alu instid0(VALU_DEP_3) | instskip(NEXT) | instid1(VALU_DEP_1)
	v_add_co_u32 v40, s0, v0, v44
	v_add_co_ci_u32_e64 v41, s0, 0, v1, s0
	s_clause 0xa
	global_load_b128 v[0:3], v[40:41], off
	global_load_b128 v[4:7], v[40:41], off offset:352
	global_load_b128 v[8:11], v[40:41], off offset:704
	;; [unrolled: 1-line block ×10, first 2 shown]
	v_add3_u32 v44, 0, v60, v44
	v_add_nc_u32_e32 v58, 0x42, v50
	v_add_nc_u32_e32 v57, 0x58, v50
	;; [unrolled: 1-line block ×3, first 2 shown]
	s_waitcnt vmcnt(10)
	ds_store_b128 v44, v[0:3]
	s_waitcnt vmcnt(9)
	ds_store_b128 v44, v[4:7] offset:352
	s_waitcnt vmcnt(8)
	ds_store_b128 v44, v[8:11] offset:704
	;; [unrolled: 2-line block ×10, first 2 shown]
.LBB0_12:
	s_or_b32 exec_lo, exec_lo, s1
	s_delay_alu instid0(VALU_DEP_1)
	v_add_nc_u32_e32 v61, 0, v60
	v_lshlrev_b32_e32 v51, 4, v50
	s_load_b64 s[2:3], s[2:3], 0x0
	s_waitcnt lgkmcnt(0)
	s_barrier
	buffer_gl0_inv
	v_add_nc_u32_e32 v62, v61, v51
	v_add3_u32 v56, 0, v51, v60
	s_mov_b32 s4, 0xf8bb580b
	s_mov_b32 s5, 0xbfe14ced
	ds_load_b128 v[4:7], v62
	ds_load_b128 v[8:11], v56 offset:352
	ds_load_b128 v[16:19], v56 offset:704
	;; [unrolled: 1-line block ×3, first 2 shown]
	s_mov_b32 s1, 0xbfed1bb4
	s_mov_b32 s0, 0x8eee2c13
	s_mov_b32 s20, 0x43842ef
	s_mov_b32 s22, 0xbb3a28a1
	s_mov_b32 s24, 0xfd768dbf
	s_mov_b32 s21, 0xbfefac9e
	s_mov_b32 s23, 0xbfe82f19
	s_mov_b32 s25, 0xbfd207e7
	s_mov_b32 s12, 0x8764f0ba
	s_mov_b32 s10, 0xd9c712b6
	s_mov_b32 s13, 0x3feaeb8c
	s_mov_b32 s11, 0x3fda9628
	s_mov_b32 s16, 0x640f44db
	s_mov_b32 s14, 0x7f775887
	s_mov_b32 s18, 0x9bcd5057
	s_mov_b32 s29, 0x3fd207e7
	s_mov_b32 s31, 0x3fefac9e
	s_mov_b32 s27, 0x3fe14ced
	s_waitcnt lgkmcnt(2)
	v_add_f64 v[0:1], v[4:5], v[8:9]
	v_add_f64 v[2:3], v[6:7], v[10:11]
	s_mov_b32 s28, s24
	s_mov_b32 s30, s20
	;; [unrolled: 1-line block ×6, first 2 shown]
	s_waitcnt lgkmcnt(1)
	s_delay_alu instid0(VALU_DEP_2) | instskip(NEXT) | instid1(VALU_DEP_2)
	v_add_f64 v[44:45], v[0:1], v[16:17]
	v_add_f64 v[46:47], v[2:3], v[18:19]
	ds_load_b128 v[0:3], v56 offset:3520
	ds_load_b128 v[24:27], v56 offset:2816
	;; [unrolled: 1-line block ×7, first 2 shown]
	s_waitcnt lgkmcnt(0)
	s_barrier
	buffer_gl0_inv
	v_add_f64 v[71:72], v[22:23], -v[26:27]
	v_add_f64 v[63:64], v[10:11], -v[2:3]
	v_add_f64 v[65:66], v[8:9], -v[0:1]
	v_add_f64 v[67:68], v[18:19], -v[14:15]
	v_add_f64 v[69:70], v[16:17], -v[12:13]
	v_add_f64 v[75:76], v[38:39], -v[34:35]
	v_add_f64 v[77:78], v[36:37], -v[32:33]
	v_add_f64 v[8:9], v[8:9], v[0:1]
	v_add_f64 v[10:11], v[10:11], v[2:3]
	;; [unrolled: 1-line block ×4, first 2 shown]
	v_add_f64 v[73:74], v[20:21], -v[24:25]
	v_add_f64 v[81:82], v[40:41], -v[28:29]
	v_add_f64 v[87:88], v[40:41], v[28:29]
	v_add_f64 v[16:17], v[16:17], v[12:13]
	;; [unrolled: 1-line block ×5, first 2 shown]
	v_add_f64 v[79:80], v[42:43], -v[30:31]
	v_add_f64 v[89:90], v[42:43], v[30:31]
	v_add_f64 v[20:21], v[20:21], v[24:25]
	v_add_f64 v[22:23], v[22:23], v[26:27]
	v_mul_f64 v[123:124], v[71:72], s[28:29]
	v_mul_f64 v[95:96], v[63:64], s[0:1]
	;; [unrolled: 1-line block ×13, first 2 shown]
	s_mov_b32 s1, 0x3fed1bb4
	v_mul_f64 v[119:120], v[67:68], s[22:23]
	v_mul_f64 v[121:122], v[69:70], s[22:23]
	v_add_f64 v[36:37], v[44:45], v[36:37]
	v_add_f64 v[38:39], v[46:47], v[38:39]
	v_mul_f64 v[46:47], v[77:78], s[22:23]
	v_mul_f64 v[129:130], v[77:78], s[30:31]
	;; [unrolled: 1-line block ×21, first 2 shown]
	v_fma_f64 v[167:168], v[8:9], s[10:11], -v[95:96]
	v_fma_f64 v[95:96], v[8:9], s[10:11], v[95:96]
	v_fma_f64 v[169:170], v[10:11], s[10:11], v[97:98]
	v_fma_f64 v[97:98], v[10:11], s[10:11], -v[97:98]
	v_fma_f64 v[171:172], v[8:9], s[16:17], -v[99:100]
	v_fma_f64 v[99:100], v[8:9], s[16:17], v[99:100]
	v_fma_f64 v[173:174], v[8:9], s[14:15], -v[101:102]
	v_fma_f64 v[101:102], v[8:9], s[14:15], v[101:102]
	;; [unrolled: 2-line block ×3, first 2 shown]
	v_fma_f64 v[179:180], v[10:11], s[18:19], v[65:66]
	v_fma_f64 v[105:106], v[10:11], s[14:15], -v[105:106]
	v_fma_f64 v[181:182], v[18:19], s[10:11], -v[109:110]
	;; [unrolled: 1-line block ×3, first 2 shown]
	v_fma_f64 v[193:194], v[18:19], s[14:15], v[121:122]
	v_add_f64 v[36:37], v[36:37], v[40:41]
	v_add_f64 v[38:39], v[38:39], v[42:43]
	v_mul_f64 v[40:41], v[77:78], s[0:1]
	v_fma_f64 v[77:78], v[10:11], s[12:13], v[93:94]
	v_fma_f64 v[93:94], v[10:11], s[12:13], -v[93:94]
	v_fma_f64 v[42:43], v[8:9], s[12:13], -v[91:92]
	v_fma_f64 v[91:92], v[8:9], s[12:13], v[91:92]
	v_fma_f64 v[8:9], v[8:9], s[18:19], v[63:64]
	v_fma_f64 v[63:64], v[10:11], s[16:17], v[103:104]
	v_fma_f64 v[103:104], v[10:11], s[16:17], -v[103:104]
	v_fma_f64 v[10:11], v[10:11], s[18:19], -v[65:66]
	v_fma_f64 v[65:66], v[16:17], s[10:11], v[107:108]
	v_fma_f64 v[199:200], v[16:17], s[18:19], -v[135:136]
	v_fma_f64 v[201:202], v[18:19], s[18:19], v[137:138]
	;; [unrolled: 2-line block ×3, first 2 shown]
	v_mul_f64 v[139:140], v[75:76], s[4:5]
	v_mul_f64 v[155:156], v[75:76], s[24:25]
	;; [unrolled: 1-line block ×3, first 2 shown]
	v_fma_f64 v[185:186], v[22:23], s[16:17], -v[113:114]
	v_fma_f64 v[195:196], v[20:21], s[18:19], -v[123:124]
	v_fma_f64 v[197:198], v[22:23], s[18:19], v[125:126]
	v_fma_f64 v[183:184], v[20:21], s[16:17], v[111:112]
	v_add_f64 v[167:168], v[4:5], v[167:168]
	v_add_f64 v[95:96], v[4:5], v[95:96]
	v_fma_f64 v[207:208], v[20:21], s[12:13], -v[151:152]
	v_add_f64 v[97:98], v[6:7], v[97:98]
	v_fma_f64 v[111:112], v[20:21], s[16:17], -v[111:112]
	v_add_f64 v[99:100], v[4:5], v[99:100]
	v_fma_f64 v[123:124], v[20:21], s[18:19], v[123:124]
	v_add_f64 v[101:102], v[4:5], v[101:102]
	v_add_f64 v[175:176], v[4:5], v[175:176]
	v_fma_f64 v[113:114], v[22:23], s[16:17], v[113:114]
	v_fma_f64 v[125:126], v[22:23], s[18:19], -v[125:126]
	v_mul_f64 v[115:116], v[79:80], s[24:25]
	v_mul_f64 v[131:132], v[79:80], s[26:27]
	;; [unrolled: 1-line block ×4, first 2 shown]
	v_add_f64 v[28:29], v[36:37], v[28:29]
	v_add_f64 v[30:31], v[38:39], v[30:31]
	v_fma_f64 v[38:39], v[16:17], s[10:11], -v[107:108]
	v_fma_f64 v[107:108], v[16:17], s[14:15], v[119:120]
	v_fma_f64 v[119:120], v[16:17], s[18:19], v[135:136]
	;; [unrolled: 1-line block ×3, first 2 shown]
	v_fma_f64 v[147:148], v[16:17], s[12:13], -v[67:68]
	v_fma_f64 v[16:17], v[16:17], s[12:13], v[67:68]
	v_fma_f64 v[67:68], v[18:19], s[10:11], v[109:110]
	v_fma_f64 v[109:110], v[18:19], s[14:15], -v[121:122]
	v_fma_f64 v[121:122], v[18:19], s[18:19], -v[137:138]
	;; [unrolled: 1-line block ×3, first 2 shown]
	v_add_f64 v[93:94], v[6:7], v[93:94]
	v_fma_f64 v[149:150], v[18:19], s[12:13], v[69:70]
	v_fma_f64 v[18:19], v[18:19], s[12:13], -v[69:70]
	v_add_f64 v[69:70], v[6:7], v[169:170]
	v_add_f64 v[169:170], v[4:5], v[171:172]
	;; [unrolled: 1-line block ×14, first 2 shown]
	v_fma_f64 v[105:106], v[20:21], s[12:13], v[151:152]
	v_fma_f64 v[151:152], v[20:21], s[14:15], -v[159:160]
	v_fma_f64 v[77:78], v[20:21], s[14:15], v[159:160]
	v_fma_f64 v[179:180], v[20:21], s[10:11], -v[71:72]
	v_fma_f64 v[20:21], v[20:21], s[10:11], v[71:72]
	v_fma_f64 v[71:72], v[22:23], s[10:11], v[73:74]
	;; [unrolled: 1-line block ×4, first 2 shown]
	v_fma_f64 v[161:162], v[22:23], s[14:15], -v[161:162]
	v_fma_f64 v[153:154], v[22:23], s[12:13], -v[153:154]
	;; [unrolled: 1-line block ×3, first 2 shown]
	v_add_f64 v[28:29], v[28:29], v[32:33]
	v_add_f64 v[30:31], v[30:31], v[34:35]
	v_mul_f64 v[163:164], v[79:80], s[20:21]
	v_mul_f64 v[79:80], v[79:80], s[0:1]
	v_fma_f64 v[187:188], v[83:84], s[14:15], v[44:45]
	v_fma_f64 v[189:190], v[85:86], s[14:15], -v[46:47]
	v_fma_f64 v[191:192], v[85:86], s[16:17], v[129:130]
	v_fma_f64 v[32:33], v[83:84], s[12:13], -v[139:140]
	;; [unrolled: 2-line block ×3, first 2 shown]
	v_add_f64 v[93:94], v[181:182], v[93:94]
	v_fma_f64 v[181:182], v[83:84], s[16:17], -v[127:128]
	v_fma_f64 v[46:47], v[85:86], s[14:15], v[46:47]
	v_add_f64 v[69:70], v[193:194], v[69:70]
	v_add_f64 v[169:170], v[199:200], v[169:170]
	;; [unrolled: 1-line block ×18, first 2 shown]
	v_fma_f64 v[67:68], v[83:84], s[18:19], -v[155:156]
	v_fma_f64 v[97:98], v[85:86], s[18:19], v[157:158]
	v_fma_f64 v[103:104], v[83:84], s[16:17], v[127:128]
	v_fma_f64 v[109:110], v[83:84], s[12:13], v[139:140]
	v_fma_f64 v[119:120], v[83:84], s[18:19], v[155:156]
	v_fma_f64 v[121:122], v[85:86], s[16:17], -v[129:130]
	v_fma_f64 v[127:128], v[85:86], s[12:13], -v[141:142]
	;; [unrolled: 1-line block ×4, first 2 shown]
	v_fma_f64 v[75:76], v[83:84], s[10:11], v[75:76]
	v_fma_f64 v[83:84], v[85:86], s[10:11], v[40:41]
	v_fma_f64 v[40:41], v[85:86], s[10:11], -v[40:41]
	v_mul_f64 v[145:146], v[81:82], s[22:23]
	v_mul_f64 v[117:118], v[81:82], s[24:25]
	;; [unrolled: 1-line block ×4, first 2 shown]
	v_fma_f64 v[73:74], v[87:88], s[18:19], v[115:116]
	v_add_f64 v[85:86], v[185:186], v[93:94]
	v_add_f64 v[93:94], v[195:196], v[167:168]
	v_fma_f64 v[193:194], v[87:88], s[12:13], -v[131:132]
	v_add_f64 v[69:70], v[197:198], v[69:70]
	v_add_f64 v[137:138], v[179:180], v[169:170]
	;; [unrolled: 1-line block ×20, first 2 shown]
	v_fma_f64 v[199:200], v[89:90], s[12:13], v[133:134]
	v_fma_f64 v[26:27], v[87:88], s[14:15], -v[143:144]
	v_fma_f64 v[30:31], v[87:88], s[18:19], -v[115:116]
	v_fma_f64 v[77:78], v[87:88], s[12:13], v[131:132]
	v_fma_f64 v[105:106], v[87:88], s[14:15], v[143:144]
	v_fma_f64 v[107:108], v[87:88], s[16:17], -v[163:164]
	v_fma_f64 v[111:112], v[87:88], s[16:17], v[163:164]
	v_fma_f64 v[131:132], v[87:88], s[10:11], -v[79:80]
	;; [unrolled: 2-line block ×4, first 2 shown]
	v_fma_f64 v[113:114], v[89:90], s[16:17], v[165:166]
	v_fma_f64 v[133:134], v[89:90], s[10:11], v[81:82]
	v_fma_f64 v[115:116], v[89:90], s[16:17], -v[165:166]
	v_fma_f64 v[123:124], v[89:90], s[14:15], -v[145:146]
	v_add_f64 v[87:88], v[181:182], v[93:94]
	v_fma_f64 v[117:118], v[89:90], s[18:19], v[117:118]
	v_add_f64 v[69:70], v[191:192], v[69:70]
	v_add_f64 v[32:33], v[32:33], v[137:138]
	;; [unrolled: 1-line block ×6, first 2 shown]
	v_fma_f64 v[81:82], v[89:90], s[10:11], -v[81:82]
	v_add_f64 v[42:43], v[103:104], v[42:43]
	v_add_f64 v[67:68], v[119:120], v[95:96]
	;; [unrolled: 1-line block ×15, first 2 shown]
	v_cmp_gt_u32_e64 s0, 11, v50
	v_add_f64 v[8:9], v[193:194], v[87:88]
	v_add_f64 v[10:11], v[199:200], v[69:70]
	;; [unrolled: 1-line block ×7, first 2 shown]
	v_lshl_add_u32 v64, v58, 4, v61
	v_add_f64 v[24:25], v[77:78], v[42:43]
	v_add_f64 v[32:33], v[79:80], v[67:68]
	;; [unrolled: 1-line block ×15, first 2 shown]
	v_mad_u32_u24 v44, 0xa0, v50, v56
	v_lshl_add_u32 v66, v55, 4, v61
	v_lshl_add_u32 v65, v59, 4, v61
	;; [unrolled: 1-line block ×3, first 2 shown]
	ds_store_b128 v44, v[8:11] offset:32
	ds_store_b128 v44, v[12:15] offset:48
	;; [unrolled: 1-line block ×9, first 2 shown]
	ds_store_b128 v44, v[0:3]
	ds_store_b128 v44, v[20:23] offset:16
	s_waitcnt lgkmcnt(0)
	s_barrier
	buffer_gl0_inv
	ds_load_b128 v[16:19], v62
	ds_load_b128 v[28:31], v56 offset:1936
	ds_load_b128 v[20:23], v66
	ds_load_b128 v[12:15], v65
	ds_load_b128 v[40:43], v56 offset:2288
	ds_load_b128 v[32:35], v56 offset:2640
	ds_load_b128 v[24:27], v64
	ds_load_b128 v[8:11], v63
	ds_load_b128 v[44:47], v56 offset:2992
	ds_load_b128 v[36:39], v56 offset:3344
	v_lshlrev_b32_e32 v67, 4, v54
                                        ; implicit-def: $vgpr2_vgpr3
	s_and_saveexec_b32 s1, s0
	s_cbranch_execz .LBB0_14
; %bb.13:
	s_delay_alu instid0(VALU_DEP_1)
	v_add3_u32 v0, 0, v67, v60
	ds_load_b128 v[4:7], v0
	ds_load_b128 v[0:3], v56 offset:3696
.LBB0_14:
	s_or_b32 exec_lo, exec_lo, s1
	v_dual_mov_b32 v89, 0 :: v_dual_and_b32 v68, 0xff, v55
	v_and_b32_e32 v69, 0xff, v59
	v_and_b32_e32 v70, 0xff, v58
	;; [unrolled: 1-line block ×3, first 2 shown]
	s_delay_alu instid0(VALU_DEP_4) | instskip(NEXT) | instid1(VALU_DEP_4)
	v_mul_lo_u16 v68, 0x75, v68
	v_mul_lo_u16 v69, 0x75, v69
	s_delay_alu instid0(VALU_DEP_4) | instskip(NEXT) | instid1(VALU_DEP_4)
	v_mul_lo_u16 v70, 0x75, v70
	v_mul_lo_u16 v71, 0x75, v71
	s_delay_alu instid0(VALU_DEP_4) | instskip(NEXT) | instid1(VALU_DEP_4)
	v_lshrrev_b16 v68, 8, v68
	v_lshrrev_b16 v69, 8, v69
	s_delay_alu instid0(VALU_DEP_4) | instskip(NEXT) | instid1(VALU_DEP_4)
	v_lshrrev_b16 v70, 8, v70
	v_lshrrev_b16 v71, 8, v71
	s_delay_alu instid0(VALU_DEP_4) | instskip(NEXT) | instid1(VALU_DEP_4)
	v_sub_nc_u16 v72, v55, v68
	v_sub_nc_u16 v73, v59, v69
	s_delay_alu instid0(VALU_DEP_4) | instskip(NEXT) | instid1(VALU_DEP_4)
	v_sub_nc_u16 v74, v58, v70
	v_sub_nc_u16 v75, v57, v71
	s_delay_alu instid0(VALU_DEP_4) | instskip(NEXT) | instid1(VALU_DEP_4)
	v_lshrrev_b16 v72, 1, v72
	v_lshrrev_b16 v73, 1, v73
	s_delay_alu instid0(VALU_DEP_4) | instskip(NEXT) | instid1(VALU_DEP_4)
	v_lshrrev_b16 v74, 1, v74
	v_lshrrev_b16 v75, 1, v75
	s_delay_alu instid0(VALU_DEP_4) | instskip(NEXT) | instid1(VALU_DEP_4)
	v_and_b32_e32 v72, 0x7f, v72
	v_and_b32_e32 v73, 0x7f, v73
	s_delay_alu instid0(VALU_DEP_4) | instskip(NEXT) | instid1(VALU_DEP_4)
	v_and_b32_e32 v74, 0x7f, v74
	v_and_b32_e32 v75, 0x7f, v75
	s_delay_alu instid0(VALU_DEP_4)
	v_add_nc_u16 v68, v72, v68
	v_add_nc_u32_e32 v72, -11, v50
	v_add_nc_u16 v69, v73, v69
	v_add_nc_u16 v70, v74, v70
	;; [unrolled: 1-line block ×3, first 2 shown]
	v_lshrrev_b16 v99, 3, v68
	v_cndmask_b32_e64 v88, v72, v50, s0
	v_lshrrev_b16 v100, 3, v69
	v_lshrrev_b16 v101, 3, v70
	;; [unrolled: 1-line block ×3, first 2 shown]
	v_mul_lo_u16 v68, v99, 11
	s_delay_alu instid0(VALU_DEP_4) | instskip(NEXT) | instid1(VALU_DEP_4)
	v_mul_lo_u16 v69, v100, 11
	v_mul_lo_u16 v70, v101, 11
	s_delay_alu instid0(VALU_DEP_4) | instskip(NEXT) | instid1(VALU_DEP_4)
	v_mul_lo_u16 v71, v102, 11
	v_sub_nc_u16 v72, v55, v68
	s_delay_alu instid0(VALU_DEP_4) | instskip(SKIP_2) | instid1(VALU_DEP_4)
	v_sub_nc_u16 v73, v59, v69
	v_lshlrev_b64 v[68:69], 4, v[88:89]
	v_sub_nc_u16 v70, v58, v70
	v_and_b32_e32 v72, 0xff, v72
	v_sub_nc_u16 v71, v57, v71
	v_and_b32_e32 v73, 0xff, v73
	v_add_co_u32 v68, s1, s8, v68
	s_delay_alu instid0(VALU_DEP_1)
	v_add_co_ci_u32_e64 v69, s1, s9, v69, s1
	v_and_b32_e32 v74, 0xff, v70
	v_lshlrev_b32_e32 v103, 4, v72
	v_and_b32_e32 v76, 0xff, v71
	global_load_b128 v[68:71], v[68:69], off
	v_lshlrev_b32_e32 v104, 4, v73
	v_lshlrev_b32_e32 v105, 4, v74
	global_load_b128 v[72:75], v103, s[8:9]
	v_lshlrev_b32_e32 v106, 4, v76
	s_clause 0x2
	global_load_b128 v[76:79], v104, s[8:9]
	global_load_b128 v[80:83], v105, s[8:9]
	;; [unrolled: 1-line block ×3, first 2 shown]
	v_cmp_lt_u32_e64 s1, 10, v50
	s_waitcnt vmcnt(0) lgkmcnt(0)
	s_barrier
	buffer_gl0_inv
	v_mul_f64 v[89:90], v[30:31], v[70:71]
	v_mul_f64 v[70:71], v[28:29], v[70:71]
	;; [unrolled: 1-line block ×10, first 2 shown]
	v_fma_f64 v[28:29], v[28:29], v[68:69], -v[89:90]
	v_fma_f64 v[30:31], v[30:31], v[68:69], v[70:71]
	v_fma_f64 v[40:41], v[40:41], v[72:73], -v[91:92]
	v_fma_f64 v[42:43], v[42:43], v[72:73], v[74:75]
	;; [unrolled: 2-line block ×5, first 2 shown]
	v_add_f64 v[28:29], v[16:17], -v[28:29]
	v_add_f64 v[30:31], v[18:19], -v[30:31]
	;; [unrolled: 1-line block ×10, first 2 shown]
	v_cndmask_b32_e64 v68, 0, 0x160, s1
	v_lshlrev_b32_e32 v69, 4, v88
	v_and_b32_e32 v70, 0xffff, v99
	v_and_b32_e32 v71, 0xffff, v100
	;; [unrolled: 1-line block ×3, first 2 shown]
	v_add_nc_u32_e32 v68, 0, v68
	v_and_b32_e32 v73, 0xffff, v102
	s_delay_alu instid0(VALU_DEP_2) | instskip(SKIP_4) | instid1(VALU_DEP_4)
	v_add3_u32 v68, v68, v69, v60
	v_mad_u32_u24 v69, 0x160, v70, 0
	v_mad_u32_u24 v70, 0x160, v71, 0
	;; [unrolled: 1-line block ×4, first 2 shown]
	v_add3_u32 v69, v69, v103, v60
	s_delay_alu instid0(VALU_DEP_4) | instskip(NEXT) | instid1(VALU_DEP_4)
	v_add3_u32 v70, v70, v104, v60
	v_add3_u32 v71, v71, v105, v60
	s_delay_alu instid0(VALU_DEP_4)
	v_add3_u32 v72, v72, v106, v60
	v_fma_f64 v[16:17], v[16:17], 2.0, -v[28:29]
	v_fma_f64 v[18:19], v[18:19], 2.0, -v[30:31]
	v_fma_f64 v[20:21], v[20:21], 2.0, -v[32:33]
	v_fma_f64 v[22:23], v[22:23], 2.0, -v[34:35]
	v_fma_f64 v[12:13], v[12:13], 2.0, -v[36:37]
	v_fma_f64 v[14:15], v[14:15], 2.0, -v[38:39]
	v_fma_f64 v[24:25], v[24:25], 2.0, -v[40:41]
	v_fma_f64 v[26:27], v[26:27], 2.0, -v[42:43]
	v_fma_f64 v[8:9], v[8:9], 2.0, -v[44:45]
	v_fma_f64 v[10:11], v[10:11], 2.0, -v[46:47]
	ds_store_b128 v68, v[16:19]
	ds_store_b128 v68, v[28:31] offset:176
	ds_store_b128 v69, v[20:23]
	ds_store_b128 v69, v[32:35] offset:176
	;; [unrolled: 2-line block ×5, first 2 shown]
	s_and_saveexec_b32 s1, s0
	s_cbranch_execz .LBB0_16
; %bb.15:
	v_and_b32_e32 v8, 0xff, v54
	s_delay_alu instid0(VALU_DEP_1) | instskip(NEXT) | instid1(VALU_DEP_1)
	v_mul_lo_u16 v8, 0x75, v8
	v_lshrrev_b16 v8, 8, v8
	s_delay_alu instid0(VALU_DEP_1) | instskip(NEXT) | instid1(VALU_DEP_1)
	v_sub_nc_u16 v9, v54, v8
	v_lshrrev_b16 v9, 1, v9
	s_delay_alu instid0(VALU_DEP_1) | instskip(NEXT) | instid1(VALU_DEP_1)
	v_and_b32_e32 v9, 0x7f, v9
	v_add_nc_u16 v8, v9, v8
	s_delay_alu instid0(VALU_DEP_1) | instskip(NEXT) | instid1(VALU_DEP_1)
	v_lshrrev_b16 v8, 3, v8
	v_mul_lo_u16 v8, v8, 11
	s_delay_alu instid0(VALU_DEP_1) | instskip(NEXT) | instid1(VALU_DEP_1)
	v_sub_nc_u16 v8, v54, v8
	v_and_b32_e32 v8, 0xff, v8
	s_delay_alu instid0(VALU_DEP_1) | instskip(SKIP_4) | instid1(VALU_DEP_2)
	v_lshlrev_b32_e32 v14, 4, v8
	global_load_b128 v[8:11], v14, s[8:9]
	s_waitcnt vmcnt(0)
	v_mul_f64 v[12:13], v[0:1], v[10:11]
	v_mul_f64 v[10:11], v[2:3], v[10:11]
	v_fma_f64 v[2:3], v[2:3], v[8:9], v[12:13]
	s_delay_alu instid0(VALU_DEP_2) | instskip(SKIP_1) | instid1(VALU_DEP_3)
	v_fma_f64 v[0:1], v[0:1], v[8:9], -v[10:11]
	v_add3_u32 v8, 0, v14, v60
	v_add_f64 v[2:3], v[6:7], -v[2:3]
	s_delay_alu instid0(VALU_DEP_3) | instskip(NEXT) | instid1(VALU_DEP_2)
	v_add_f64 v[0:1], v[4:5], -v[0:1]
	v_fma_f64 v[6:7], v[6:7], 2.0, -v[2:3]
	s_delay_alu instid0(VALU_DEP_2)
	v_fma_f64 v[4:5], v[4:5], 2.0, -v[0:1]
	ds_store_b128 v8, v[4:7] offset:3520
	ds_store_b128 v8, v[0:3] offset:3696
.LBB0_16:
	s_or_b32 exec_lo, exec_lo, s1
	v_mul_u32_u24_e32 v0, 10, v50
	s_waitcnt lgkmcnt(0)
	s_barrier
	buffer_gl0_inv
	v_add3_u32 v60, 0, v67, v60
	v_lshlrev_b32_e32 v4, 4, v0
	s_mov_b32 s22, 0xf8bb580b
	s_mov_b32 s23, 0xbfe14ced
	;; [unrolled: 1-line block ×4, first 2 shown]
	s_clause 0x9
	global_load_b128 v[0:3], v4, s[8:9] offset:176
	global_load_b128 v[6:9], v4, s[8:9] offset:320
	;; [unrolled: 1-line block ×10, first 2 shown]
	ds_load_b128 v[44:47], v66
	ds_load_b128 v[68:71], v65
	ds_load_b128 v[72:75], v56 offset:3520
	ds_load_b128 v[76:79], v56 offset:3168
	;; [unrolled: 1-line block ×3, first 2 shown]
	ds_load_b128 v[84:87], v64
	ds_load_b128 v[88:91], v63
	ds_load_b128 v[92:95], v56 offset:2464
	ds_load_b128 v[96:99], v60
	ds_load_b128 v[100:103], v56 offset:2112
	s_mov_b32 s24, 0xbb3a28a1
	s_mov_b32 s25, 0xbfe82f19
	s_mov_b32 s26, 0xfd768dbf
	s_mov_b32 s27, 0xbfd207e7
	s_mov_b32 s4, 0x8764f0ba
	s_mov_b32 s5, 0x3feaeb8c
	s_mov_b32 s12, 0x640f44db
	s_mov_b32 s29, 0x3fe14ced
	s_mov_b32 s28, s22
	s_mov_b32 s13, 0xbfc2375f
	s_mov_b32 s35, 0x3fd207e7
	s_mov_b32 s34, s26
	s_mov_b32 s30, s20
	s_waitcnt vmcnt(9) lgkmcnt(9)
	v_mul_f64 v[4:5], v[46:47], v[2:3]
	v_mul_f64 v[2:3], v[44:45], v[2:3]
	s_waitcnt vmcnt(8) lgkmcnt(7)
	v_mul_f64 v[38:39], v[72:73], v[8:9]
	v_mul_f64 v[8:9], v[74:75], v[8:9]
	s_waitcnt vmcnt(7)
	v_mul_f64 v[104:105], v[70:71], v[12:13]
	v_mul_f64 v[12:13], v[68:69], v[12:13]
	s_waitcnt vmcnt(6) lgkmcnt(6)
	v_mul_f64 v[106:107], v[76:77], v[16:17]
	v_mul_f64 v[16:17], v[78:79], v[16:17]
	s_waitcnt vmcnt(3) lgkmcnt(3)
	;; [unrolled: 3-line block ×3, first 2 shown]
	v_mul_f64 v[114:115], v[98:99], v[32:33]
	s_waitcnt vmcnt(1)
	v_mul_f64 v[116:117], v[92:93], v[36:37]
	v_mul_f64 v[118:119], v[94:95], v[36:37]
	;; [unrolled: 1-line block ×3, first 2 shown]
	v_fma_f64 v[108:109], v[44:45], v[0:1], -v[4:5]
	v_fma_f64 v[110:111], v[46:47], v[0:1], v[2:3]
	ds_load_b128 v[0:3], v62
	v_mul_f64 v[44:45], v[86:87], v[20:21]
	v_mul_f64 v[20:21], v[84:85], v[20:21]
	v_fma_f64 v[4:5], v[74:75], v[6:7], v[38:39]
	v_fma_f64 v[6:7], v[72:73], v[6:7], -v[8:9]
	v_fma_f64 v[67:68], v[68:69], v[10:11], -v[104:105]
	v_fma_f64 v[69:70], v[70:71], v[10:11], v[12:13]
	v_mul_f64 v[46:47], v[80:81], v[24:25]
	v_mul_f64 v[24:25], v[82:83], v[24:25]
	s_waitcnt vmcnt(0) lgkmcnt(1)
	v_mul_f64 v[120:121], v[100:101], v[42:43]
	v_mul_f64 v[42:43], v[102:103], v[42:43]
	v_fma_f64 v[8:9], v[78:79], v[14:15], v[106:107]
	v_fma_f64 v[10:11], v[76:77], v[14:15], -v[16:17]
	v_fma_f64 v[38:39], v[90:91], v[26:27], v[28:29]
	v_fma_f64 v[28:29], v[96:97], v[30:31], -v[114:115]
	v_fma_f64 v[36:37], v[88:89], v[26:27], -v[112:113]
	v_fma_f64 v[16:17], v[94:95], v[34:35], v[116:117]
	v_fma_f64 v[30:31], v[98:99], v[30:31], v[32:33]
	s_waitcnt lgkmcnt(0)
	s_barrier
	buffer_gl0_inv
	v_add_f64 v[71:72], v[0:1], v[108:109]
	v_add_f64 v[73:74], v[2:3], v[110:111]
	v_fma_f64 v[75:76], v[84:85], v[18:19], -v[44:45]
	v_fma_f64 v[77:78], v[86:87], v[18:19], v[20:21]
	v_fma_f64 v[18:19], v[92:93], v[34:35], -v[118:119]
	v_fma_f64 v[12:13], v[82:83], v[22:23], v[46:47]
	v_fma_f64 v[14:15], v[80:81], v[22:23], -v[24:25]
	v_add_f64 v[79:80], v[110:111], -v[4:5]
	v_fma_f64 v[22:23], v[100:101], v[40:41], -v[42:43]
	v_add_f64 v[81:82], v[108:109], -v[6:7]
	v_add_f64 v[83:84], v[69:70], -v[8:9]
	;; [unrolled: 1-line block ×3, first 2 shown]
	v_fma_f64 v[20:21], v[102:103], v[40:41], v[120:121]
	v_add_f64 v[40:41], v[108:109], v[6:7]
	v_add_f64 v[42:43], v[110:111], v[4:5]
	;; [unrolled: 1-line block ×7, first 2 shown]
	v_add_f64 v[67:68], v[38:39], -v[16:17]
	v_add_f64 v[69:70], v[36:37], -v[18:19]
	v_add_f64 v[91:92], v[36:37], v[18:19]
	v_add_f64 v[46:47], v[77:78], -v[12:13]
	v_add_f64 v[44:45], v[75:76], -v[14:15]
	v_mul_f64 v[99:100], v[79:80], s[22:23]
	v_add_f64 v[89:90], v[28:29], -v[22:23]
	v_mul_f64 v[101:102], v[81:82], s[22:23]
	v_mul_f64 v[103:104], v[79:80], s[16:17]
	;; [unrolled: 1-line block ×11, first 2 shown]
	s_mov_b32 s17, 0x3fed1bb4
	v_mul_f64 v[119:120], v[83:84], s[24:25]
	v_mul_f64 v[121:122], v[85:86], s[24:25]
	v_add_f64 v[24:25], v[75:76], v[14:15]
	v_add_f64 v[26:27], v[77:78], v[12:13]
	v_mul_f64 v[123:124], v[83:84], s[30:31]
	v_mul_f64 v[125:126], v[85:86], s[30:31]
	v_add_f64 v[87:88], v[30:31], -v[20:21]
	v_add_f64 v[95:96], v[28:29], v[22:23]
	v_add_f64 v[97:98], v[30:31], v[20:21]
	;; [unrolled: 1-line block ×4, first 2 shown]
	v_mul_f64 v[75:76], v[83:84], s[34:35]
	v_mul_f64 v[77:78], v[85:86], s[34:35]
	;; [unrolled: 1-line block ×14, first 2 shown]
	v_fma_f64 v[175:176], v[40:41], s[10:11], -v[103:104]
	v_fma_f64 v[177:178], v[42:43], s[10:11], v[105:106]
	v_fma_f64 v[179:180], v[40:41], s[12:13], -v[107:108]
	v_fma_f64 v[181:182], v[42:43], s[12:13], v[109:110]
	v_fma_f64 v[103:104], v[40:41], s[10:11], v[103:104]
	;; [unrolled: 1-line block ×3, first 2 shown]
	v_fma_f64 v[183:184], v[40:41], s[14:15], -v[111:112]
	v_fma_f64 v[185:186], v[42:43], s[14:15], v[113:114]
	v_fma_f64 v[111:112], v[40:41], s[14:15], v[111:112]
	v_fma_f64 v[187:188], v[40:41], s[18:19], -v[79:80]
	v_fma_f64 v[189:190], v[42:43], s[18:19], v[81:82]
	v_fma_f64 v[105:106], v[42:43], s[10:11], -v[105:106]
	v_fma_f64 v[109:110], v[42:43], s[12:13], -v[109:110]
	;; [unrolled: 1-line block ×3, first 2 shown]
	v_mul_f64 v[133:134], v[44:45], s[34:35]
	v_mul_f64 v[135:136], v[46:47], s[22:23]
	;; [unrolled: 1-line block ×7, first 2 shown]
	v_fma_f64 v[191:192], v[32:33], s[14:15], -v[119:120]
	v_add_f64 v[36:37], v[71:72], v[36:37]
	v_add_f64 v[38:39], v[73:74], v[38:39]
	v_mul_f64 v[71:72], v[89:90], s[16:17]
	v_fma_f64 v[73:74], v[40:41], s[4:5], -v[99:100]
	v_fma_f64 v[89:90], v[42:43], s[4:5], v[101:102]
	v_fma_f64 v[99:100], v[40:41], s[4:5], v[99:100]
	v_fma_f64 v[101:102], v[42:43], s[4:5], -v[101:102]
	v_fma_f64 v[40:41], v[40:41], s[18:19], v[79:80]
	v_fma_f64 v[42:43], v[42:43], s[18:19], -v[81:82]
	v_fma_f64 v[79:80], v[32:33], s[10:11], -v[115:116]
	v_fma_f64 v[81:82], v[34:35], s[10:11], v[117:118]
	v_fma_f64 v[115:116], v[32:33], s[10:11], v[115:116]
	v_fma_f64 v[117:118], v[34:35], s[10:11], -v[117:118]
	v_fma_f64 v[193:194], v[34:35], s[14:15], v[121:122]
	v_fma_f64 v[195:196], v[32:33], s[18:19], -v[75:76]
	v_fma_f64 v[197:198], v[34:35], s[18:19], v[77:78]
	v_add_f64 v[175:176], v[0:1], v[175:176]
	v_add_f64 v[177:178], v[2:3], v[177:178]
	;; [unrolled: 1-line block ×4, first 2 shown]
	v_fma_f64 v[119:120], v[32:33], s[14:15], v[119:120]
	v_fma_f64 v[75:76], v[32:33], s[18:19], v[75:76]
	v_fma_f64 v[199:200], v[32:33], s[12:13], -v[123:124]
	v_fma_f64 v[201:202], v[34:35], s[12:13], v[125:126]
	v_add_f64 v[103:104], v[0:1], v[103:104]
	v_add_f64 v[107:108], v[0:1], v[107:108]
	;; [unrolled: 1-line block ×4, first 2 shown]
	v_fma_f64 v[123:124], v[32:33], s[12:13], v[123:124]
	v_add_f64 v[111:112], v[0:1], v[111:112]
	v_add_f64 v[187:188], v[0:1], v[187:188]
	;; [unrolled: 1-line block ×3, first 2 shown]
	v_fma_f64 v[121:122], v[34:35], s[14:15], -v[121:122]
	v_fma_f64 v[77:78], v[34:35], s[18:19], -v[77:78]
	v_add_f64 v[109:110], v[2:3], v[109:110]
	v_add_f64 v[105:106], v[2:3], v[105:106]
	v_mul_f64 v[149:150], v[69:70], s[30:31]
	v_mul_f64 v[151:152], v[67:68], s[22:23]
	v_add_f64 v[28:29], v[36:37], v[28:29]
	v_add_f64 v[30:31], v[38:39], v[30:31]
	v_fma_f64 v[36:37], v[34:35], s[12:13], -v[125:126]
	v_add_f64 v[73:74], v[0:1], v[73:74]
	v_fma_f64 v[38:39], v[32:33], s[4:5], -v[83:84]
	v_add_f64 v[99:100], v[0:1], v[99:100]
	v_add_f64 v[101:102], v[2:3], v[101:102]
	v_fma_f64 v[125:126], v[34:35], s[4:5], v[85:86]
	v_fma_f64 v[32:33], v[32:33], s[4:5], v[83:84]
	v_fma_f64 v[34:35], v[34:35], s[4:5], -v[85:86]
	v_add_f64 v[0:1], v[0:1], v[40:41]
	v_add_f64 v[40:41], v[2:3], v[42:43]
	;; [unrolled: 1-line block ×4, first 2 shown]
	v_mul_f64 v[153:154], v[69:70], s[22:23]
	v_mul_f64 v[155:156], v[67:68], s[26:27]
	;; [unrolled: 1-line block ×5, first 2 shown]
	v_fma_f64 v[83:84], v[24:25], s[12:13], -v[127:128]
	v_fma_f64 v[85:86], v[26:27], s[12:13], v[129:130]
	v_fma_f64 v[127:128], v[24:25], s[12:13], v[127:128]
	v_fma_f64 v[129:130], v[26:27], s[12:13], -v[129:130]
	v_fma_f64 v[203:204], v[24:25], s[18:19], -v[131:132]
	v_fma_f64 v[205:206], v[26:27], s[18:19], v[133:134]
	v_fma_f64 v[131:132], v[24:25], s[18:19], v[131:132]
	v_fma_f64 v[133:134], v[26:27], s[18:19], -v[133:134]
	;; [unrolled: 4-line block ×3, first 2 shown]
	v_fma_f64 v[89:90], v[24:25], s[14:15], v[139:140]
	v_fma_f64 v[113:114], v[26:27], s[14:15], -v[141:142]
	v_fma_f64 v[215:216], v[24:25], s[10:11], -v[46:47]
	v_add_f64 v[103:104], v[119:120], v[103:104]
	v_add_f64 v[75:76], v[75:76], v[107:108]
	;; [unrolled: 1-line block ×6, first 2 shown]
	v_fma_f64 v[28:29], v[24:25], s[14:15], -v[139:140]
	v_fma_f64 v[30:31], v[26:27], s[14:15], v[141:142]
	v_fma_f64 v[24:25], v[24:25], s[10:11], v[46:47]
	;; [unrolled: 1-line block ×3, first 2 shown]
	v_fma_f64 v[26:27], v[26:27], s[10:11], -v[44:45]
	v_add_f64 v[44:45], v[79:80], v[73:74]
	v_add_f64 v[73:74], v[115:116], v[99:100]
	;; [unrolled: 1-line block ×16, first 2 shown]
	v_mul_f64 v[163:164], v[87:88], s[28:29]
	v_fma_f64 v[139:140], v[91:92], s[14:15], -v[143:144]
	v_fma_f64 v[141:142], v[93:94], s[14:15], v[145:146]
	v_fma_f64 v[143:144], v[91:92], s[14:15], v[143:144]
	v_fma_f64 v[145:146], v[93:94], s[14:15], -v[145:146]
	v_fma_f64 v[211:212], v[91:92], s[12:13], -v[147:148]
	v_fma_f64 v[213:214], v[93:94], s[12:13], v[149:150]
	v_fma_f64 v[147:148], v[91:92], s[12:13], v[147:148]
	v_fma_f64 v[149:150], v[93:94], s[12:13], -v[149:150]
	v_fma_f64 v[42:43], v[91:92], s[4:5], v[151:152]
	v_fma_f64 v[77:78], v[93:94], s[4:5], -v[153:154]
	v_fma_f64 v[81:82], v[91:92], s[18:19], -v[155:156]
	v_fma_f64 v[105:106], v[93:94], s[18:19], v[157:158]
	v_fma_f64 v[109:110], v[91:92], s[18:19], v[155:156]
	v_fma_f64 v[121:122], v[93:94], s[18:19], -v[157:158]
	v_add_f64 v[18:19], v[22:23], v[18:19]
	v_add_f64 v[16:17], v[20:21], v[16:17]
	v_fma_f64 v[20:21], v[91:92], s[4:5], -v[151:152]
	v_fma_f64 v[22:23], v[93:94], s[4:5], v[153:154]
	v_fma_f64 v[157:158], v[91:92], s[10:11], -v[67:68]
	v_fma_f64 v[67:68], v[91:92], s[10:11], v[67:68]
	v_fma_f64 v[91:92], v[93:94], s[10:11], v[69:70]
	v_fma_f64 v[69:70], v[93:94], s[10:11], -v[69:70]
	v_add_f64 v[44:45], v[83:84], v[44:45]
	v_mul_f64 v[167:168], v[87:88], s[24:25]
	v_add_f64 v[83:84], v[203:204], v[99:100]
	v_add_f64 v[93:94], v[205:206], v[101:102]
	;; [unrolled: 1-line block ×4, first 2 shown]
	v_mul_f64 v[159:160], v[87:88], s[26:27]
	v_mul_f64 v[171:172], v[87:88], s[20:21]
	;; [unrolled: 1-line block ×3, first 2 shown]
	v_add_f64 v[99:100], v[131:132], v[103:104]
	v_add_f64 v[24:25], v[24:25], v[75:76]
	;; [unrolled: 1-line block ×15, first 2 shown]
	v_fma_f64 v[89:90], v[97:98], s[14:15], v[169:170]
	v_fma_f64 v[129:130], v[97:98], s[10:11], v[71:72]
	;; [unrolled: 1-line block ×4, first 2 shown]
	v_fma_f64 v[123:124], v[97:98], s[12:13], -v[173:174]
	v_fma_f64 v[71:72], v[97:98], s[10:11], -v[71:72]
	v_add_f64 v[14:15], v[18:19], v[14:15]
	v_add_f64 v[12:13], v[16:17], v[12:13]
	v_fma_f64 v[16:17], v[95:96], s[4:5], -v[163:164]
	v_fma_f64 v[18:19], v[97:98], s[4:5], v[165:166]
	v_fma_f64 v[113:114], v[97:98], s[14:15], -v[169:170]
	v_fma_f64 v[85:86], v[97:98], s[4:5], -v[165:166]
	;; [unrolled: 1-line block ×3, first 2 shown]
	v_fma_f64 v[151:152], v[97:98], s[18:19], v[161:162]
	v_add_f64 v[44:45], v[139:140], v[44:45]
	v_fma_f64 v[40:41], v[95:96], s[14:15], -v[167:168]
	v_add_f64 v[83:84], v[211:212], v[83:84]
	v_add_f64 v[93:94], v[213:214], v[93:94]
	;; [unrolled: 1-line block ×4, first 2 shown]
	v_fma_f64 v[125:126], v[95:96], s[18:19], -v[159:160]
	v_fma_f64 v[153:154], v[95:96], s[18:19], v[159:160]
	v_fma_f64 v[127:128], v[95:96], s[10:11], -v[87:88]
	v_fma_f64 v[111:112], v[95:96], s[14:15], v[167:168]
	v_add_f64 v[24:25], v[42:43], v[24:25]
	v_add_f64 v[42:43], v[81:82], v[75:76]
	;; [unrolled: 1-line block ×3, first 2 shown]
	v_fma_f64 v[115:116], v[95:96], s[12:13], -v[171:172]
	v_fma_f64 v[119:120], v[95:96], s[12:13], v[171:172]
	v_fma_f64 v[87:88], v[95:96], s[10:11], v[87:88]
	v_add_f64 v[95:96], v[147:148], v[99:100]
	v_add_f64 v[81:82], v[157:158], v[28:29]
	;; [unrolled: 1-line block ×12, first 2 shown]
	s_mov_b32 s4, exec_lo
	v_add_f64 v[97:98], v[14:15], v[10:11]
	v_add_f64 v[99:100], v[12:13], v[8:9]
	;; [unrolled: 1-line block ×24, first 2 shown]
	ds_store_b128 v56, v[12:15] offset:704
	ds_store_b128 v56, v[20:23] offset:1056
	;; [unrolled: 1-line block ×9, first 2 shown]
	ds_store_b128 v56, v[44:47]
	ds_store_b128 v56, v[0:3] offset:352
	s_waitcnt lgkmcnt(0)
	s_barrier
	buffer_gl0_inv
	ds_load_b128 v[4:7], v62
	v_sub_nc_u32_e32 v10, v61, v51
                                        ; implicit-def: $vgpr2_vgpr3
                                        ; implicit-def: $vgpr8_vgpr9
	v_cmpx_ne_u32_e32 0, v50
	s_xor_b32 s4, exec_lo, s4
	s_cbranch_execz .LBB0_18
; %bb.17:
	v_mov_b32_e32 v51, 0
	s_delay_alu instid0(VALU_DEP_1) | instskip(NEXT) | instid1(VALU_DEP_1)
	v_lshlrev_b64 v[0:1], 4, v[50:51]
	v_add_co_u32 v0, s1, s8, v0
	s_delay_alu instid0(VALU_DEP_1)
	v_add_co_ci_u32_e64 v1, s1, s9, v1, s1
	global_load_b128 v[11:14], v[0:1], off offset:3696
	ds_load_b128 v[0:3], v10 offset:3872
	s_waitcnt lgkmcnt(0)
	v_add_f64 v[8:9], v[4:5], -v[0:1]
	v_add_f64 v[15:16], v[6:7], v[2:3]
	v_add_f64 v[2:3], v[6:7], -v[2:3]
	v_add_f64 v[0:1], v[4:5], v[0:1]
	s_delay_alu instid0(VALU_DEP_4) | instskip(NEXT) | instid1(VALU_DEP_4)
	v_mul_f64 v[6:7], v[8:9], 0.5
	v_mul_f64 v[4:5], v[15:16], 0.5
	s_delay_alu instid0(VALU_DEP_4) | instskip(SKIP_1) | instid1(VALU_DEP_3)
	v_mul_f64 v[2:3], v[2:3], 0.5
	s_waitcnt vmcnt(0)
	v_mul_f64 v[8:9], v[6:7], v[13:14]
	s_delay_alu instid0(VALU_DEP_2) | instskip(SKIP_1) | instid1(VALU_DEP_3)
	v_fma_f64 v[15:16], v[4:5], v[13:14], v[2:3]
	v_fma_f64 v[2:3], v[4:5], v[13:14], -v[2:3]
	v_fma_f64 v[17:18], v[0:1], 0.5, v[8:9]
	v_fma_f64 v[0:1], v[0:1], 0.5, -v[8:9]
	s_delay_alu instid0(VALU_DEP_4) | instskip(NEXT) | instid1(VALU_DEP_4)
	v_fma_f64 v[8:9], -v[11:12], v[6:7], v[15:16]
	v_fma_f64 v[2:3], -v[11:12], v[6:7], v[2:3]
	s_delay_alu instid0(VALU_DEP_4) | instskip(NEXT) | instid1(VALU_DEP_4)
	v_fma_f64 v[13:14], v[4:5], v[11:12], v[17:18]
	v_fma_f64 v[0:1], -v[4:5], v[11:12], v[0:1]
                                        ; implicit-def: $vgpr4_vgpr5
	ds_store_b64 v62, v[13:14]
.LBB0_18:
	s_and_not1_saveexec_b32 s1, s4
	s_cbranch_execz .LBB0_20
; %bb.19:
	s_waitcnt lgkmcnt(0)
	v_add_f64 v[11:12], v[4:5], v[6:7]
	v_add_f64 v[0:1], v[4:5], -v[6:7]
	ds_load_b64 v[4:5], v61 offset:1944
	v_mov_b32_e32 v8, 0
	v_mov_b32_e32 v9, 0
	s_delay_alu instid0(VALU_DEP_1)
	v_dual_mov_b32 v2, v8 :: v_dual_mov_b32 v3, v9
	s_waitcnt lgkmcnt(0)
	v_xor_b32_e32 v5, 0x80000000, v5
	ds_store_b64 v62, v[11:12]
	ds_store_b64 v61, v[4:5] offset:1944
.LBB0_20:
	s_or_b32 exec_lo, exec_lo, s1
	v_mov_b32_e32 v56, 0
	s_waitcnt lgkmcnt(0)
	s_delay_alu instid0(VALU_DEP_1) | instskip(SKIP_1) | instid1(VALU_DEP_1)
	v_lshlrev_b64 v[4:5], 4, v[55:56]
	v_mov_b32_e32 v60, v56
	v_lshlrev_b64 v[11:12], 4, v[59:60]
	s_delay_alu instid0(VALU_DEP_3) | instskip(NEXT) | instid1(VALU_DEP_1)
	v_add_co_u32 v4, s1, s8, v4
	v_add_co_ci_u32_e64 v5, s1, s9, v5, s1
	v_mov_b32_e32 v59, v56
	s_delay_alu instid0(VALU_DEP_4)
	v_add_co_u32 v11, s1, s8, v11
	global_load_b128 v[4:7], v[4:5], off offset:3696
	v_add_co_ci_u32_e64 v12, s1, s9, v12, s1
	global_load_b128 v[11:14], v[11:12], off offset:3696
	ds_store_b64 v62, v[8:9] offset:8
	ds_store_b128 v10, v[0:3] offset:3872
	ds_load_b128 v[0:3], v66
	ds_load_b128 v[15:18], v10 offset:3520
	s_waitcnt lgkmcnt(0)
	v_add_f64 v[8:9], v[0:1], -v[15:16]
	v_add_f64 v[19:20], v[2:3], v[17:18]
	v_add_f64 v[2:3], v[2:3], -v[17:18]
	v_add_f64 v[0:1], v[0:1], v[15:16]
	s_delay_alu instid0(VALU_DEP_4) | instskip(NEXT) | instid1(VALU_DEP_4)
	v_mul_f64 v[8:9], v[8:9], 0.5
	v_mul_f64 v[17:18], v[19:20], 0.5
	s_delay_alu instid0(VALU_DEP_4) | instskip(SKIP_1) | instid1(VALU_DEP_3)
	v_mul_f64 v[2:3], v[2:3], 0.5
	s_waitcnt vmcnt(1)
	v_mul_f64 v[15:16], v[8:9], v[6:7]
	s_delay_alu instid0(VALU_DEP_2) | instskip(SKIP_1) | instid1(VALU_DEP_3)
	v_fma_f64 v[19:20], v[17:18], v[6:7], v[2:3]
	v_fma_f64 v[6:7], v[17:18], v[6:7], -v[2:3]
	v_fma_f64 v[21:22], v[0:1], 0.5, v[15:16]
	v_fma_f64 v[15:16], v[0:1], 0.5, -v[15:16]
	s_delay_alu instid0(VALU_DEP_4) | instskip(NEXT) | instid1(VALU_DEP_4)
	v_fma_f64 v[2:3], -v[4:5], v[8:9], v[19:20]
	v_fma_f64 v[6:7], -v[4:5], v[8:9], v[6:7]
	v_lshlrev_b64 v[8:9], 4, v[58:59]
	v_mov_b32_e32 v58, v56
	s_delay_alu instid0(VALU_DEP_2) | instskip(NEXT) | instid1(VALU_DEP_1)
	v_add_co_u32 v8, s1, s8, v8
	v_add_co_ci_u32_e64 v9, s1, s9, v9, s1
	v_fma_f64 v[0:1], v[17:18], v[4:5], v[21:22]
	v_fma_f64 v[4:5], -v[17:18], v[4:5], v[15:16]
	global_load_b128 v[15:18], v[8:9], off offset:3696
	ds_store_b128 v66, v[0:3]
	ds_store_b128 v10, v[4:7] offset:3520
	ds_load_b128 v[0:3], v65
	ds_load_b128 v[4:7], v10 offset:3168
	s_waitcnt lgkmcnt(0)
	v_add_f64 v[8:9], v[0:1], -v[4:5]
	v_add_f64 v[19:20], v[2:3], v[6:7]
	v_add_f64 v[2:3], v[2:3], -v[6:7]
	v_add_f64 v[0:1], v[0:1], v[4:5]
	s_delay_alu instid0(VALU_DEP_4) | instskip(NEXT) | instid1(VALU_DEP_4)
	v_mul_f64 v[6:7], v[8:9], 0.5
	v_mul_f64 v[8:9], v[19:20], 0.5
	s_delay_alu instid0(VALU_DEP_4) | instskip(SKIP_1) | instid1(VALU_DEP_3)
	v_mul_f64 v[2:3], v[2:3], 0.5
	s_waitcnt vmcnt(1)
	v_mul_f64 v[4:5], v[6:7], v[13:14]
	s_delay_alu instid0(VALU_DEP_2) | instskip(SKIP_1) | instid1(VALU_DEP_3)
	v_fma_f64 v[19:20], v[8:9], v[13:14], v[2:3]
	v_fma_f64 v[13:14], v[8:9], v[13:14], -v[2:3]
	v_fma_f64 v[21:22], v[0:1], 0.5, v[4:5]
	v_fma_f64 v[4:5], v[0:1], 0.5, -v[4:5]
	s_delay_alu instid0(VALU_DEP_4) | instskip(NEXT) | instid1(VALU_DEP_4)
	v_fma_f64 v[2:3], -v[11:12], v[6:7], v[19:20]
	v_fma_f64 v[6:7], -v[11:12], v[6:7], v[13:14]
	s_delay_alu instid0(VALU_DEP_4) | instskip(NEXT) | instid1(VALU_DEP_4)
	v_fma_f64 v[0:1], v[8:9], v[11:12], v[21:22]
	v_fma_f64 v[4:5], -v[8:9], v[11:12], v[4:5]
	v_lshlrev_b64 v[8:9], 4, v[57:58]
	s_delay_alu instid0(VALU_DEP_1) | instskip(NEXT) | instid1(VALU_DEP_1)
	v_add_co_u32 v8, s1, s8, v8
	v_add_co_ci_u32_e64 v9, s1, s9, v9, s1
	global_load_b128 v[11:14], v[8:9], off offset:3696
	ds_store_b128 v65, v[0:3]
	ds_store_b128 v10, v[4:7] offset:3168
	ds_load_b128 v[0:3], v64
	ds_load_b128 v[4:7], v10 offset:2816
	s_waitcnt lgkmcnt(0)
	v_add_f64 v[8:9], v[0:1], -v[4:5]
	v_add_f64 v[19:20], v[2:3], v[6:7]
	v_add_f64 v[2:3], v[2:3], -v[6:7]
	v_add_f64 v[0:1], v[0:1], v[4:5]
	s_delay_alu instid0(VALU_DEP_4) | instskip(NEXT) | instid1(VALU_DEP_4)
	v_mul_f64 v[6:7], v[8:9], 0.5
	v_mul_f64 v[8:9], v[19:20], 0.5
	s_delay_alu instid0(VALU_DEP_4) | instskip(SKIP_1) | instid1(VALU_DEP_3)
	v_mul_f64 v[2:3], v[2:3], 0.5
	s_waitcnt vmcnt(1)
	v_mul_f64 v[4:5], v[6:7], v[17:18]
	s_delay_alu instid0(VALU_DEP_2) | instskip(SKIP_1) | instid1(VALU_DEP_3)
	v_fma_f64 v[19:20], v[8:9], v[17:18], v[2:3]
	v_fma_f64 v[17:18], v[8:9], v[17:18], -v[2:3]
	v_fma_f64 v[21:22], v[0:1], 0.5, v[4:5]
	v_fma_f64 v[4:5], v[0:1], 0.5, -v[4:5]
	s_delay_alu instid0(VALU_DEP_4) | instskip(NEXT) | instid1(VALU_DEP_4)
	v_fma_f64 v[2:3], -v[15:16], v[6:7], v[19:20]
	v_fma_f64 v[6:7], -v[15:16], v[6:7], v[17:18]
	s_delay_alu instid0(VALU_DEP_4) | instskip(NEXT) | instid1(VALU_DEP_4)
	v_fma_f64 v[0:1], v[8:9], v[15:16], v[21:22]
	v_fma_f64 v[4:5], -v[8:9], v[15:16], v[4:5]
	ds_store_b128 v64, v[0:3]
	ds_store_b128 v10, v[4:7] offset:2816
	ds_load_b128 v[0:3], v63
	ds_load_b128 v[4:7], v10 offset:2464
	s_waitcnt lgkmcnt(0)
	v_add_f64 v[8:9], v[0:1], -v[4:5]
	v_add_f64 v[15:16], v[2:3], v[6:7]
	v_add_f64 v[2:3], v[2:3], -v[6:7]
	v_add_f64 v[0:1], v[0:1], v[4:5]
	s_delay_alu instid0(VALU_DEP_4) | instskip(NEXT) | instid1(VALU_DEP_4)
	v_mul_f64 v[6:7], v[8:9], 0.5
	v_mul_f64 v[8:9], v[15:16], 0.5
	s_delay_alu instid0(VALU_DEP_4) | instskip(SKIP_1) | instid1(VALU_DEP_3)
	v_mul_f64 v[2:3], v[2:3], 0.5
	s_waitcnt vmcnt(0)
	v_mul_f64 v[4:5], v[6:7], v[13:14]
	s_delay_alu instid0(VALU_DEP_2) | instskip(SKIP_1) | instid1(VALU_DEP_3)
	v_fma_f64 v[15:16], v[8:9], v[13:14], v[2:3]
	v_fma_f64 v[13:14], v[8:9], v[13:14], -v[2:3]
	v_fma_f64 v[17:18], v[0:1], 0.5, v[4:5]
	v_fma_f64 v[4:5], v[0:1], 0.5, -v[4:5]
	s_delay_alu instid0(VALU_DEP_4) | instskip(NEXT) | instid1(VALU_DEP_4)
	v_fma_f64 v[2:3], -v[11:12], v[6:7], v[15:16]
	v_fma_f64 v[6:7], -v[11:12], v[6:7], v[13:14]
	s_delay_alu instid0(VALU_DEP_4) | instskip(NEXT) | instid1(VALU_DEP_4)
	v_fma_f64 v[0:1], v[8:9], v[11:12], v[17:18]
	v_fma_f64 v[4:5], -v[8:9], v[11:12], v[4:5]
	ds_store_b128 v63, v[0:3]
	ds_store_b128 v10, v[4:7] offset:2464
	s_and_saveexec_b32 s1, s0
	s_cbranch_execz .LBB0_22
; %bb.21:
	v_mov_b32_e32 v55, v56
	v_lshl_add_u32 v17, v54, 4, v61
	s_delay_alu instid0(VALU_DEP_2) | instskip(NEXT) | instid1(VALU_DEP_1)
	v_lshlrev_b64 v[0:1], 4, v[54:55]
	v_add_co_u32 v0, s0, s8, v0
	s_delay_alu instid0(VALU_DEP_1)
	v_add_co_ci_u32_e64 v1, s0, s9, v1, s0
	global_load_b128 v[0:3], v[0:1], off offset:3696
	ds_load_b128 v[4:7], v17
	ds_load_b128 v[11:14], v10 offset:2112
	s_waitcnt lgkmcnt(0)
	v_add_f64 v[8:9], v[4:5], -v[11:12]
	v_add_f64 v[15:16], v[6:7], v[13:14]
	v_add_f64 v[6:7], v[6:7], -v[13:14]
	v_add_f64 v[4:5], v[4:5], v[11:12]
	s_delay_alu instid0(VALU_DEP_4) | instskip(NEXT) | instid1(VALU_DEP_4)
	v_mul_f64 v[8:9], v[8:9], 0.5
	v_mul_f64 v[13:14], v[15:16], 0.5
	s_delay_alu instid0(VALU_DEP_4) | instskip(SKIP_1) | instid1(VALU_DEP_3)
	v_mul_f64 v[6:7], v[6:7], 0.5
	s_waitcnt vmcnt(0)
	v_mul_f64 v[11:12], v[8:9], v[2:3]
	s_delay_alu instid0(VALU_DEP_2) | instskip(SKIP_1) | instid1(VALU_DEP_3)
	v_fma_f64 v[15:16], v[13:14], v[2:3], v[6:7]
	v_fma_f64 v[2:3], v[13:14], v[2:3], -v[6:7]
	v_fma_f64 v[6:7], v[4:5], 0.5, v[11:12]
	v_fma_f64 v[11:12], v[4:5], 0.5, -v[11:12]
	s_delay_alu instid0(VALU_DEP_4) | instskip(NEXT) | instid1(VALU_DEP_4)
	v_fma_f64 v[4:5], -v[0:1], v[8:9], v[15:16]
	v_fma_f64 v[8:9], -v[0:1], v[8:9], v[2:3]
	s_delay_alu instid0(VALU_DEP_4) | instskip(NEXT) | instid1(VALU_DEP_4)
	v_fma_f64 v[2:3], v[13:14], v[0:1], v[6:7]
	v_fma_f64 v[6:7], -v[13:14], v[0:1], v[11:12]
	ds_store_b128 v17, v[2:5]
	ds_store_b128 v10, v[6:9] offset:2112
.LBB0_22:
	s_or_b32 exec_lo, exec_lo, s1
	s_waitcnt lgkmcnt(0)
	s_barrier
	buffer_gl0_inv
	s_and_saveexec_b32 s0, vcc_lo
	s_cbranch_execz .LBB0_25
; %bb.23:
	v_mul_lo_u32 v2, s3, v52
	v_mul_lo_u32 v3, s2, v53
	v_mad_u64_u32 v[0:1], null, s2, v52, 0
	v_mov_b32_e32 v51, 0
	v_lshlrev_b64 v[11:12], 4, v[48:49]
	v_add_nc_u32_e32 v13, 22, v50
	v_add_nc_u32_e32 v25, 0x6e, v50
	s_delay_alu instid0(VALU_DEP_4)
	v_dual_mov_b32 v28, v51 :: v_dual_add_nc_u32 v27, 0x84, v50
	v_add3_u32 v1, v1, v3, v2
	v_lshl_add_u32 v2, v50, 4, v61
	v_mov_b32_e32 v14, v51
	ds_load_b128 v[3:6], v2
	ds_load_b128 v[7:10], v2 offset:352
	v_lshlrev_b64 v[0:1], 4, v[0:1]
	v_lshlrev_b64 v[15:16], 4, v[50:51]
	v_dual_mov_b32 v26, v51 :: v_dual_add_nc_u32 v31, 0xdc, v50
	v_mov_b32_e32 v32, v51
	s_delay_alu instid0(VALU_DEP_4) | instskip(SKIP_1) | instid1(VALU_DEP_4)
	v_add_co_u32 v0, vcc_lo, s6, v0
	v_add_co_ci_u32_e32 v1, vcc_lo, s7, v1, vcc_lo
	v_lshlrev_b64 v[25:26], 4, v[25:26]
	s_delay_alu instid0(VALU_DEP_3) | instskip(NEXT) | instid1(VALU_DEP_3)
	v_add_co_u32 v0, vcc_lo, v0, v11
	v_add_co_ci_u32_e32 v1, vcc_lo, v1, v12, vcc_lo
	v_lshlrev_b64 v[11:12], 4, v[13:14]
	s_delay_alu instid0(VALU_DEP_3) | instskip(NEXT) | instid1(VALU_DEP_3)
	v_add_co_u32 v13, vcc_lo, v0, v15
	v_add_co_ci_u32_e32 v14, vcc_lo, v1, v16, vcc_lo
	v_dual_mov_b32 v16, v51 :: v_dual_add_nc_u32 v15, 44, v50
	s_delay_alu instid0(VALU_DEP_4)
	v_add_co_u32 v11, vcc_lo, v0, v11
	v_add_co_ci_u32_e32 v12, vcc_lo, v1, v12, vcc_lo
	s_waitcnt lgkmcnt(1)
	global_store_b128 v[13:14], v[3:6], off
	s_waitcnt lgkmcnt(0)
	global_store_b128 v[11:12], v[7:10], off
	v_lshlrev_b64 v[3:4], 4, v[15:16]
	v_dual_mov_b32 v12, v51 :: v_dual_add_nc_u32 v11, 0x42, v50
	v_dual_mov_b32 v14, v51 :: v_dual_add_nc_u32 v13, 0x58, v50
	v_lshlrev_b64 v[31:32], 4, v[31:32]
	s_delay_alu instid0(VALU_DEP_4)
	v_add_co_u32 v19, vcc_lo, v0, v3
	v_add_co_ci_u32_e32 v20, vcc_lo, v1, v4, vcc_lo
	ds_load_b128 v[3:6], v2 offset:704
	ds_load_b128 v[7:10], v2 offset:1056
	v_lshlrev_b64 v[21:22], 4, v[11:12]
	v_lshlrev_b64 v[23:24], 4, v[13:14]
	ds_load_b128 v[11:14], v2 offset:1408
	ds_load_b128 v[15:18], v2 offset:1760
	v_add_co_u32 v21, vcc_lo, v0, v21
	v_add_co_ci_u32_e32 v22, vcc_lo, v1, v22, vcc_lo
	v_add_co_u32 v23, vcc_lo, v0, v23
	v_add_co_ci_u32_e32 v24, vcc_lo, v1, v24, vcc_lo
	;; [unrolled: 2-line block ×3, first 2 shown]
	s_waitcnt lgkmcnt(3)
	global_store_b128 v[19:20], v[3:6], off
	s_waitcnt lgkmcnt(2)
	global_store_b128 v[21:22], v[7:10], off
	;; [unrolled: 2-line block ×4, first 2 shown]
	v_dual_mov_b32 v12, v51 :: v_dual_add_nc_u32 v11, 0x9a, v50
	v_lshlrev_b64 v[3:4], 4, v[27:28]
	v_dual_mov_b32 v14, v51 :: v_dual_add_nc_u32 v13, 0xb0, v50
	v_dual_mov_b32 v20, v51 :: v_dual_add_nc_u32 v19, 0xc6, v50
	s_delay_alu instid0(VALU_DEP_4) | instskip(NEXT) | instid1(VALU_DEP_4)
	v_lshlrev_b64 v[11:12], 4, v[11:12]
	v_add_co_u32 v23, vcc_lo, v0, v3
	v_add_co_ci_u32_e32 v24, vcc_lo, v1, v4, vcc_lo
	ds_load_b128 v[3:6], v2 offset:2112
	ds_load_b128 v[7:10], v2 offset:2464
	v_add_co_u32 v25, vcc_lo, v0, v11
	v_add_co_ci_u32_e32 v26, vcc_lo, v1, v12, vcc_lo
	v_lshlrev_b64 v[27:28], 4, v[13:14]
	ds_load_b128 v[11:14], v2 offset:2816
	ds_load_b128 v[15:18], v2 offset:3168
	v_lshlrev_b64 v[29:30], 4, v[19:20]
	ds_load_b128 v[19:22], v2 offset:3520
	v_add_co_u32 v27, vcc_lo, v0, v27
	v_add_co_ci_u32_e32 v28, vcc_lo, v1, v28, vcc_lo
	v_add_co_u32 v29, vcc_lo, v0, v29
	v_add_co_ci_u32_e32 v30, vcc_lo, v1, v30, vcc_lo
	;; [unrolled: 2-line block ×3, first 2 shown]
	v_cmp_eq_u32_e32 vcc_lo, 21, v50
	s_waitcnt lgkmcnt(4)
	global_store_b128 v[23:24], v[3:6], off
	s_waitcnt lgkmcnt(3)
	global_store_b128 v[25:26], v[7:10], off
	;; [unrolled: 2-line block ×5, first 2 shown]
	s_and_b32 exec_lo, exec_lo, vcc_lo
	s_cbranch_execz .LBB0_25
; %bb.24:
	ds_load_b128 v[2:5], v2 offset:3536
	s_waitcnt lgkmcnt(0)
	global_store_b128 v[0:1], v[2:5], off offset:3872
.LBB0_25:
	s_nop 0
	s_sendmsg sendmsg(MSG_DEALLOC_VGPRS)
	s_endpgm
	.section	.rodata,"a",@progbits
	.p2align	6, 0x0
	.amdhsa_kernel fft_rtc_fwd_len242_factors_11_2_11_wgs_110_tpt_22_dp_op_CI_CI_unitstride_sbrr_R2C_dirReg
		.amdhsa_group_segment_fixed_size 0
		.amdhsa_private_segment_fixed_size 0
		.amdhsa_kernarg_size 104
		.amdhsa_user_sgpr_count 15
		.amdhsa_user_sgpr_dispatch_ptr 0
		.amdhsa_user_sgpr_queue_ptr 0
		.amdhsa_user_sgpr_kernarg_segment_ptr 1
		.amdhsa_user_sgpr_dispatch_id 0
		.amdhsa_user_sgpr_private_segment_size 0
		.amdhsa_wavefront_size32 1
		.amdhsa_uses_dynamic_stack 0
		.amdhsa_enable_private_segment 0
		.amdhsa_system_sgpr_workgroup_id_x 1
		.amdhsa_system_sgpr_workgroup_id_y 0
		.amdhsa_system_sgpr_workgroup_id_z 0
		.amdhsa_system_sgpr_workgroup_info 0
		.amdhsa_system_vgpr_workitem_id 0
		.amdhsa_next_free_vgpr 217
		.amdhsa_next_free_sgpr 36
		.amdhsa_reserve_vcc 1
		.amdhsa_float_round_mode_32 0
		.amdhsa_float_round_mode_16_64 0
		.amdhsa_float_denorm_mode_32 3
		.amdhsa_float_denorm_mode_16_64 3
		.amdhsa_dx10_clamp 1
		.amdhsa_ieee_mode 1
		.amdhsa_fp16_overflow 0
		.amdhsa_workgroup_processor_mode 1
		.amdhsa_memory_ordered 1
		.amdhsa_forward_progress 0
		.amdhsa_shared_vgpr_count 0
		.amdhsa_exception_fp_ieee_invalid_op 0
		.amdhsa_exception_fp_denorm_src 0
		.amdhsa_exception_fp_ieee_div_zero 0
		.amdhsa_exception_fp_ieee_overflow 0
		.amdhsa_exception_fp_ieee_underflow 0
		.amdhsa_exception_fp_ieee_inexact 0
		.amdhsa_exception_int_div_zero 0
	.end_amdhsa_kernel
	.text
.Lfunc_end0:
	.size	fft_rtc_fwd_len242_factors_11_2_11_wgs_110_tpt_22_dp_op_CI_CI_unitstride_sbrr_R2C_dirReg, .Lfunc_end0-fft_rtc_fwd_len242_factors_11_2_11_wgs_110_tpt_22_dp_op_CI_CI_unitstride_sbrr_R2C_dirReg
                                        ; -- End function
	.section	.AMDGPU.csdata,"",@progbits
; Kernel info:
; codeLenInByte = 11592
; NumSgprs: 38
; NumVgprs: 217
; ScratchSize: 0
; MemoryBound: 0
; FloatMode: 240
; IeeeMode: 1
; LDSByteSize: 0 bytes/workgroup (compile time only)
; SGPRBlocks: 4
; VGPRBlocks: 27
; NumSGPRsForWavesPerEU: 38
; NumVGPRsForWavesPerEU: 217
; Occupancy: 6
; WaveLimiterHint : 1
; COMPUTE_PGM_RSRC2:SCRATCH_EN: 0
; COMPUTE_PGM_RSRC2:USER_SGPR: 15
; COMPUTE_PGM_RSRC2:TRAP_HANDLER: 0
; COMPUTE_PGM_RSRC2:TGID_X_EN: 1
; COMPUTE_PGM_RSRC2:TGID_Y_EN: 0
; COMPUTE_PGM_RSRC2:TGID_Z_EN: 0
; COMPUTE_PGM_RSRC2:TIDIG_COMP_CNT: 0
	.text
	.p2alignl 7, 3214868480
	.fill 96, 4, 3214868480
	.type	__hip_cuid_6810968639480fea,@object ; @__hip_cuid_6810968639480fea
	.section	.bss,"aw",@nobits
	.globl	__hip_cuid_6810968639480fea
__hip_cuid_6810968639480fea:
	.byte	0                               ; 0x0
	.size	__hip_cuid_6810968639480fea, 1

	.ident	"AMD clang version 19.0.0git (https://github.com/RadeonOpenCompute/llvm-project roc-6.4.0 25133 c7fe45cf4b819c5991fe208aaa96edf142730f1d)"
	.section	".note.GNU-stack","",@progbits
	.addrsig
	.addrsig_sym __hip_cuid_6810968639480fea
	.amdgpu_metadata
---
amdhsa.kernels:
  - .args:
      - .actual_access:  read_only
        .address_space:  global
        .offset:         0
        .size:           8
        .value_kind:     global_buffer
      - .offset:         8
        .size:           8
        .value_kind:     by_value
      - .actual_access:  read_only
        .address_space:  global
        .offset:         16
        .size:           8
        .value_kind:     global_buffer
      - .actual_access:  read_only
        .address_space:  global
        .offset:         24
        .size:           8
        .value_kind:     global_buffer
      - .actual_access:  read_only
        .address_space:  global
        .offset:         32
        .size:           8
        .value_kind:     global_buffer
      - .offset:         40
        .size:           8
        .value_kind:     by_value
      - .actual_access:  read_only
        .address_space:  global
        .offset:         48
        .size:           8
        .value_kind:     global_buffer
      - .actual_access:  read_only
        .address_space:  global
        .offset:         56
        .size:           8
        .value_kind:     global_buffer
      - .offset:         64
        .size:           4
        .value_kind:     by_value
      - .actual_access:  read_only
        .address_space:  global
        .offset:         72
        .size:           8
        .value_kind:     global_buffer
      - .actual_access:  read_only
        .address_space:  global
        .offset:         80
        .size:           8
        .value_kind:     global_buffer
      - .actual_access:  read_only
        .address_space:  global
        .offset:         88
        .size:           8
        .value_kind:     global_buffer
      - .actual_access:  write_only
        .address_space:  global
        .offset:         96
        .size:           8
        .value_kind:     global_buffer
    .group_segment_fixed_size: 0
    .kernarg_segment_align: 8
    .kernarg_segment_size: 104
    .language:       OpenCL C
    .language_version:
      - 2
      - 0
    .max_flat_workgroup_size: 110
    .name:           fft_rtc_fwd_len242_factors_11_2_11_wgs_110_tpt_22_dp_op_CI_CI_unitstride_sbrr_R2C_dirReg
    .private_segment_fixed_size: 0
    .sgpr_count:     38
    .sgpr_spill_count: 0
    .symbol:         fft_rtc_fwd_len242_factors_11_2_11_wgs_110_tpt_22_dp_op_CI_CI_unitstride_sbrr_R2C_dirReg.kd
    .uniform_work_group_size: 1
    .uses_dynamic_stack: false
    .vgpr_count:     217
    .vgpr_spill_count: 0
    .wavefront_size: 32
    .workgroup_processor_mode: 1
amdhsa.target:   amdgcn-amd-amdhsa--gfx1100
amdhsa.version:
  - 1
  - 2
...

	.end_amdgpu_metadata
